;; amdgpu-corpus repo=ROCm/hip-tests kind=compiled arch=gfx1250 opt=O3
	.amdgcn_target "amdgcn-amd-amdhsa--gfx1250"
	.amdhsa_code_object_version 6
	.text
	.protected	_Z18funnelshift_kernelPjS_S_S_ ; -- Begin function _Z18funnelshift_kernelPjS_S_S_
	.globl	_Z18funnelshift_kernelPjS_S_S_
	.p2align	8
	.type	_Z18funnelshift_kernelPjS_S_S_,@function
_Z18funnelshift_kernelPjS_S_S_:         ; @_Z18funnelshift_kernelPjS_S_S_
; %bb.0:
	s_load_b256 s[4:11], s[0:1], 0x0
	v_dual_mov_b32 v0, 0 :: v_dual_mov_b32 v1, 0xfacefeed
	v_mov_b32_e32 v2, 0xdeadbeef
	s_mov_b32 s18, -2
	s_mov_b32 s19, 2
	s_wait_xcnt 0x0
	s_mov_b64 s[0:1], 0
	s_mov_b32 s20, 0xfacefeed
	s_wait_kmcnt 0x0
	s_clause 0x3
	global_store_b32 v0, v1, s[4:5]
	global_store_b32 v0, v1, s[6:7]
	;; [unrolled: 1-line block ×4, first 2 shown]
	s_branch .LBB0_3
.LBB0_1:                                ;   in Loop: Header=BB0_3 Depth=1
	s_wait_xcnt 0x0
	v_mov_b32_e32 v1, s18
	s_delay_alu instid0(VALU_DEP_1)
	v_alignbit_b32 v1, s20, 0xdeadbeef, v1
.LBB0_2:                                ;   in Loop: Header=BB0_3 Depth=1
	v_mov_b32_e32 v3, s19
	v_sub_nc_u32_e64 v2, 32, s19 clamp
	s_cmp_lt_u32 s21, 31
	global_store_b32 v0, v1, s[2:3] offset:8
	s_cselect_b32 vcc_lo, -1, 0
	v_alignbit_b32 v3, s20, 0xdeadbeef, v3
	v_alignbit_b32 v2, s20, 0xdeadbeef, v2
	s_add_co_i32 s18, s18, -2
	s_add_co_i32 s19, s19, 2
	s_cmp_eq_u32 s21, 63
	s_wait_xcnt 0x0
	v_cndmask_b32_e32 v1, 0xfacefeed, v3, vcc_lo
	s_add_nc_u64 s[0:1], s[0:1], 8
	s_clause 0x2
	global_store_b32 v0, v2, s[12:13] offset:8
	global_store_b32 v0, v3, s[16:17] offset:8
	;; [unrolled: 1-line block ×3, first 2 shown]
	s_cbranch_scc1 .LBB0_5
.LBB0_3:                                ; =>This Inner Loop Header: Depth=1
	s_add_co_i32 s2, s18, 1
	s_add_co_i32 s21, s19, -1
	s_wait_xcnt 0x0
	v_dual_mov_b32 v1, s2 :: v_dual_mov_b32 v3, s21
	s_wait_xcnt 0x0
	v_sub_nc_u32_e64 v2, 32, s21 clamp
	s_cmp_lt_u32 s21, 32
	s_add_nc_u64 s[2:3], s[4:5], s[0:1]
	v_alignbit_b32 v1, s20, 0xdeadbeef, v1
	v_alignbit_b32 v3, s20, 0xdeadbeef, v3
	;; [unrolled: 1-line block ×3, first 2 shown]
	s_cselect_b32 vcc_lo, -1, 0
	s_add_nc_u64 s[12:13], s[6:7], s[0:1]
	s_clause 0x1
	global_store_b32 v0, v1, s[2:3] offset:4
	global_store_b32 v0, v2, s[12:13] offset:4
	s_wait_xcnt 0x1
	v_cndmask_b32_e32 v1, 0xfacefeed, v3, vcc_lo
	s_and_b32 s22, s19, 31
	s_add_nc_u64 s[16:17], s[8:9], s[0:1]
	s_add_nc_u64 s[14:15], s[10:11], s[0:1]
	s_cmp_eq_u32 s22, 0
	s_clause 0x1
	global_store_b32 v0, v3, s[16:17] offset:4
	global_store_b32 v0, v1, s[14:15] offset:4
	s_cbranch_scc0 .LBB0_1
; %bb.4:                                ;   in Loop: Header=BB0_3 Depth=1
	s_wait_xcnt 0x0
	v_mov_b32_e32 v1, 0xfacefeed
	s_branch .LBB0_2
.LBB0_5:
	s_endpgm
	.section	.rodata,"a",@progbits
	.p2align	6, 0x0
	.amdhsa_kernel _Z18funnelshift_kernelPjS_S_S_
		.amdhsa_group_segment_fixed_size 0
		.amdhsa_private_segment_fixed_size 0
		.amdhsa_kernarg_size 32
		.amdhsa_user_sgpr_count 2
		.amdhsa_user_sgpr_dispatch_ptr 0
		.amdhsa_user_sgpr_queue_ptr 0
		.amdhsa_user_sgpr_kernarg_segment_ptr 1
		.amdhsa_user_sgpr_dispatch_id 0
		.amdhsa_user_sgpr_kernarg_preload_length 0
		.amdhsa_user_sgpr_kernarg_preload_offset 0
		.amdhsa_user_sgpr_private_segment_size 0
		.amdhsa_wavefront_size32 1
		.amdhsa_uses_dynamic_stack 0
		.amdhsa_enable_private_segment 0
		.amdhsa_system_sgpr_workgroup_id_x 1
		.amdhsa_system_sgpr_workgroup_id_y 0
		.amdhsa_system_sgpr_workgroup_id_z 0
		.amdhsa_system_sgpr_workgroup_info 0
		.amdhsa_system_vgpr_workitem_id 0
		.amdhsa_next_free_vgpr 4
		.amdhsa_next_free_sgpr 23
		.amdhsa_named_barrier_count 0
		.amdhsa_reserve_vcc 1
		.amdhsa_float_round_mode_32 0
		.amdhsa_float_round_mode_16_64 0
		.amdhsa_float_denorm_mode_32 3
		.amdhsa_float_denorm_mode_16_64 3
		.amdhsa_fp16_overflow 0
		.amdhsa_memory_ordered 1
		.amdhsa_forward_progress 1
		.amdhsa_inst_pref_size 4
		.amdhsa_round_robin_scheduling 0
		.amdhsa_exception_fp_ieee_invalid_op 0
		.amdhsa_exception_fp_denorm_src 0
		.amdhsa_exception_fp_ieee_div_zero 0
		.amdhsa_exception_fp_ieee_overflow 0
		.amdhsa_exception_fp_ieee_underflow 0
		.amdhsa_exception_fp_ieee_inexact 0
		.amdhsa_exception_int_div_zero 0
	.end_amdhsa_kernel
	.text
.Lfunc_end0:
	.size	_Z18funnelshift_kernelPjS_S_S_, .Lfunc_end0-_Z18funnelshift_kernelPjS_S_S_
                                        ; -- End function
	.set _Z18funnelshift_kernelPjS_S_S_.num_vgpr, 4
	.set _Z18funnelshift_kernelPjS_S_S_.num_agpr, 0
	.set _Z18funnelshift_kernelPjS_S_S_.numbered_sgpr, 23
	.set _Z18funnelshift_kernelPjS_S_S_.num_named_barrier, 0
	.set _Z18funnelshift_kernelPjS_S_S_.private_seg_size, 0
	.set _Z18funnelshift_kernelPjS_S_S_.uses_vcc, 1
	.set _Z18funnelshift_kernelPjS_S_S_.uses_flat_scratch, 0
	.set _Z18funnelshift_kernelPjS_S_S_.has_dyn_sized_stack, 0
	.set _Z18funnelshift_kernelPjS_S_S_.has_recursion, 0
	.set _Z18funnelshift_kernelPjS_S_S_.has_indirect_call, 0
	.section	.AMDGPU.csdata,"",@progbits
; Kernel info:
; codeLenInByte = 460
; TotalNumSgprs: 25
; NumVgprs: 4
; ScratchSize: 0
; MemoryBound: 0
; FloatMode: 240
; IeeeMode: 1
; LDSByteSize: 0 bytes/workgroup (compile time only)
; SGPRBlocks: 0
; VGPRBlocks: 0
; NumSGPRsForWavesPerEU: 25
; NumVGPRsForWavesPerEU: 4
; NamedBarCnt: 0
; Occupancy: 16
; WaveLimiterHint : 0
; COMPUTE_PGM_RSRC2:SCRATCH_EN: 0
; COMPUTE_PGM_RSRC2:USER_SGPR: 2
; COMPUTE_PGM_RSRC2:TRAP_HANDLER: 0
; COMPUTE_PGM_RSRC2:TGID_X_EN: 1
; COMPUTE_PGM_RSRC2:TGID_Y_EN: 0
; COMPUTE_PGM_RSRC2:TGID_Z_EN: 0
; COMPUTE_PGM_RSRC2:TIDIG_COMP_CNT: 0
	.text
	.p2alignl 7, 3214868480
	.fill 96, 4, 3214868480
	.section	.AMDGPU.gpr_maximums,"",@progbits
	.set amdgpu.max_num_vgpr, 0
	.set amdgpu.max_num_agpr, 0
	.set amdgpu.max_num_sgpr, 0
	.text
	.type	__hip_cuid_c4bd4d4b7533e1e1,@object ; @__hip_cuid_c4bd4d4b7533e1e1
	.section	.bss,"aw",@nobits
	.globl	__hip_cuid_c4bd4d4b7533e1e1
__hip_cuid_c4bd4d4b7533e1e1:
	.byte	0                               ; 0x0
	.size	__hip_cuid_c4bd4d4b7533e1e1, 1

	.ident	"AMD clang version 22.0.0git (https://github.com/RadeonOpenCompute/llvm-project roc-7.2.4 26084 f58b06dce1f9c15707c5f808fd002e18c2accf7e)"
	.section	".note.GNU-stack","",@progbits
	.addrsig
	.addrsig_sym __hip_cuid_c4bd4d4b7533e1e1
	.amdgpu_metadata
---
amdhsa.kernels:
  - .args:
      - .address_space:  global
        .offset:         0
        .size:           8
        .value_kind:     global_buffer
      - .address_space:  global
        .offset:         8
        .size:           8
        .value_kind:     global_buffer
      - .address_space:  global
        .offset:         16
        .size:           8
        .value_kind:     global_buffer
      - .address_space:  global
        .offset:         24
        .size:           8
        .value_kind:     global_buffer
    .group_segment_fixed_size: 0
    .kernarg_segment_align: 8
    .kernarg_segment_size: 32
    .language:       OpenCL C
    .language_version:
      - 2
      - 0
    .max_flat_workgroup_size: 1024
    .name:           _Z18funnelshift_kernelPjS_S_S_
    .private_segment_fixed_size: 0
    .sgpr_count:     25
    .sgpr_spill_count: 0
    .symbol:         _Z18funnelshift_kernelPjS_S_S_.kd
    .uniform_work_group_size: 1
    .uses_dynamic_stack: false
    .vgpr_count:     4
    .vgpr_spill_count: 0
    .wavefront_size: 32
amdhsa.target:   amdgcn-amd-amdhsa--gfx1250
amdhsa.version:
  - 1
  - 2
...

	.end_amdgpu_metadata
